;; amdgpu-corpus repo=ROCm/rocFFT kind=compiled arch=gfx1030 opt=O3
	.text
	.amdgcn_target "amdgcn-amd-amdhsa--gfx1030"
	.amdhsa_code_object_version 6
	.protected	fft_rtc_fwd_len1800_factors_10_6_10_3_wgs_180_tpt_180_halfLds_sp_ip_CI_unitstride_sbrr_dirReg ; -- Begin function fft_rtc_fwd_len1800_factors_10_6_10_3_wgs_180_tpt_180_halfLds_sp_ip_CI_unitstride_sbrr_dirReg
	.globl	fft_rtc_fwd_len1800_factors_10_6_10_3_wgs_180_tpt_180_halfLds_sp_ip_CI_unitstride_sbrr_dirReg
	.p2align	8
	.type	fft_rtc_fwd_len1800_factors_10_6_10_3_wgs_180_tpt_180_halfLds_sp_ip_CI_unitstride_sbrr_dirReg,@function
fft_rtc_fwd_len1800_factors_10_6_10_3_wgs_180_tpt_180_halfLds_sp_ip_CI_unitstride_sbrr_dirReg: ; @fft_rtc_fwd_len1800_factors_10_6_10_3_wgs_180_tpt_180_halfLds_sp_ip_CI_unitstride_sbrr_dirReg
; %bb.0:
	s_clause 0x2
	s_load_dwordx4 s[8:11], s[4:5], 0x0
	s_load_dwordx2 s[2:3], s[4:5], 0x50
	s_load_dwordx2 s[12:13], s[4:5], 0x18
	v_mul_u32_u24_e32 v1, 0x16d, v0
	v_mov_b32_e32 v3, 0
	v_add_nc_u32_sdwa v5, s6, v1 dst_sel:DWORD dst_unused:UNUSED_PAD src0_sel:DWORD src1_sel:WORD_1
	v_mov_b32_e32 v1, 0
	v_mov_b32_e32 v6, v3
	v_mov_b32_e32 v2, 0
	s_waitcnt lgkmcnt(0)
	v_cmp_lt_u64_e64 s0, s[10:11], 2
	s_and_b32 vcc_lo, exec_lo, s0
	s_cbranch_vccnz .LBB0_8
; %bb.1:
	s_load_dwordx2 s[0:1], s[4:5], 0x10
	v_mov_b32_e32 v1, 0
	s_add_u32 s6, s12, 8
	v_mov_b32_e32 v2, 0
	s_addc_u32 s7, s13, 0
	s_mov_b64 s[16:17], 1
	s_waitcnt lgkmcnt(0)
	s_add_u32 s14, s0, 8
	s_addc_u32 s15, s1, 0
.LBB0_2:                                ; =>This Inner Loop Header: Depth=1
	s_load_dwordx2 s[18:19], s[14:15], 0x0
                                        ; implicit-def: $vgpr7_vgpr8
	s_mov_b32 s0, exec_lo
	s_waitcnt lgkmcnt(0)
	v_or_b32_e32 v4, s19, v6
	v_cmpx_ne_u64_e32 0, v[3:4]
	s_xor_b32 s1, exec_lo, s0
	s_cbranch_execz .LBB0_4
; %bb.3:                                ;   in Loop: Header=BB0_2 Depth=1
	v_cvt_f32_u32_e32 v4, s18
	v_cvt_f32_u32_e32 v7, s19
	s_sub_u32 s0, 0, s18
	s_subb_u32 s20, 0, s19
	v_fmac_f32_e32 v4, 0x4f800000, v7
	v_rcp_f32_e32 v4, v4
	v_mul_f32_e32 v4, 0x5f7ffffc, v4
	v_mul_f32_e32 v7, 0x2f800000, v4
	v_trunc_f32_e32 v7, v7
	v_fmac_f32_e32 v4, 0xcf800000, v7
	v_cvt_u32_f32_e32 v7, v7
	v_cvt_u32_f32_e32 v4, v4
	v_mul_lo_u32 v8, s0, v7
	v_mul_hi_u32 v9, s0, v4
	v_mul_lo_u32 v10, s20, v4
	v_add_nc_u32_e32 v8, v9, v8
	v_mul_lo_u32 v9, s0, v4
	v_add_nc_u32_e32 v8, v8, v10
	v_mul_hi_u32 v10, v4, v9
	v_mul_lo_u32 v11, v4, v8
	v_mul_hi_u32 v12, v4, v8
	v_mul_hi_u32 v13, v7, v9
	v_mul_lo_u32 v9, v7, v9
	v_mul_hi_u32 v14, v7, v8
	v_mul_lo_u32 v8, v7, v8
	v_add_co_u32 v10, vcc_lo, v10, v11
	v_add_co_ci_u32_e32 v11, vcc_lo, 0, v12, vcc_lo
	v_add_co_u32 v9, vcc_lo, v10, v9
	v_add_co_ci_u32_e32 v9, vcc_lo, v11, v13, vcc_lo
	v_add_co_ci_u32_e32 v10, vcc_lo, 0, v14, vcc_lo
	v_add_co_u32 v8, vcc_lo, v9, v8
	v_add_co_ci_u32_e32 v9, vcc_lo, 0, v10, vcc_lo
	v_add_co_u32 v4, vcc_lo, v4, v8
	v_add_co_ci_u32_e32 v7, vcc_lo, v7, v9, vcc_lo
	v_mul_hi_u32 v8, s0, v4
	v_mul_lo_u32 v10, s20, v4
	v_mul_lo_u32 v9, s0, v7
	v_add_nc_u32_e32 v8, v8, v9
	v_mul_lo_u32 v9, s0, v4
	v_add_nc_u32_e32 v8, v8, v10
	v_mul_hi_u32 v10, v4, v9
	v_mul_lo_u32 v11, v4, v8
	v_mul_hi_u32 v12, v4, v8
	v_mul_hi_u32 v13, v7, v9
	v_mul_lo_u32 v9, v7, v9
	v_mul_hi_u32 v14, v7, v8
	v_mul_lo_u32 v8, v7, v8
	v_add_co_u32 v10, vcc_lo, v10, v11
	v_add_co_ci_u32_e32 v11, vcc_lo, 0, v12, vcc_lo
	v_add_co_u32 v9, vcc_lo, v10, v9
	v_add_co_ci_u32_e32 v9, vcc_lo, v11, v13, vcc_lo
	v_add_co_ci_u32_e32 v10, vcc_lo, 0, v14, vcc_lo
	v_add_co_u32 v8, vcc_lo, v9, v8
	v_add_co_ci_u32_e32 v9, vcc_lo, 0, v10, vcc_lo
	v_add_co_u32 v4, vcc_lo, v4, v8
	v_add_co_ci_u32_e32 v11, vcc_lo, v7, v9, vcc_lo
	v_mul_hi_u32 v13, v5, v4
	v_mad_u64_u32 v[9:10], null, v6, v4, 0
	v_mad_u64_u32 v[7:8], null, v5, v11, 0
	;; [unrolled: 1-line block ×3, first 2 shown]
	v_add_co_u32 v4, vcc_lo, v13, v7
	v_add_co_ci_u32_e32 v7, vcc_lo, 0, v8, vcc_lo
	v_add_co_u32 v4, vcc_lo, v4, v9
	v_add_co_ci_u32_e32 v4, vcc_lo, v7, v10, vcc_lo
	v_add_co_ci_u32_e32 v7, vcc_lo, 0, v12, vcc_lo
	v_add_co_u32 v4, vcc_lo, v4, v11
	v_add_co_ci_u32_e32 v9, vcc_lo, 0, v7, vcc_lo
	v_mul_lo_u32 v10, s19, v4
	v_mad_u64_u32 v[7:8], null, s18, v4, 0
	v_mul_lo_u32 v11, s18, v9
	v_sub_co_u32 v7, vcc_lo, v5, v7
	v_add3_u32 v8, v8, v11, v10
	v_sub_nc_u32_e32 v10, v6, v8
	v_subrev_co_ci_u32_e64 v10, s0, s19, v10, vcc_lo
	v_add_co_u32 v11, s0, v4, 2
	v_add_co_ci_u32_e64 v12, s0, 0, v9, s0
	v_sub_co_u32 v13, s0, v7, s18
	v_sub_co_ci_u32_e32 v8, vcc_lo, v6, v8, vcc_lo
	v_subrev_co_ci_u32_e64 v10, s0, 0, v10, s0
	v_cmp_le_u32_e32 vcc_lo, s18, v13
	v_cmp_eq_u32_e64 s0, s19, v8
	v_cndmask_b32_e64 v13, 0, -1, vcc_lo
	v_cmp_le_u32_e32 vcc_lo, s19, v10
	v_cndmask_b32_e64 v14, 0, -1, vcc_lo
	v_cmp_le_u32_e32 vcc_lo, s18, v7
	;; [unrolled: 2-line block ×3, first 2 shown]
	v_cndmask_b32_e64 v15, 0, -1, vcc_lo
	v_cmp_eq_u32_e32 vcc_lo, s19, v10
	v_cndmask_b32_e64 v7, v15, v7, s0
	v_cndmask_b32_e32 v10, v14, v13, vcc_lo
	v_add_co_u32 v13, vcc_lo, v4, 1
	v_add_co_ci_u32_e32 v14, vcc_lo, 0, v9, vcc_lo
	v_cmp_ne_u32_e32 vcc_lo, 0, v10
	v_cndmask_b32_e32 v8, v14, v12, vcc_lo
	v_cndmask_b32_e32 v10, v13, v11, vcc_lo
	v_cmp_ne_u32_e32 vcc_lo, 0, v7
	v_cndmask_b32_e32 v8, v9, v8, vcc_lo
	v_cndmask_b32_e32 v7, v4, v10, vcc_lo
.LBB0_4:                                ;   in Loop: Header=BB0_2 Depth=1
	s_andn2_saveexec_b32 s0, s1
	s_cbranch_execz .LBB0_6
; %bb.5:                                ;   in Loop: Header=BB0_2 Depth=1
	v_cvt_f32_u32_e32 v4, s18
	s_sub_i32 s1, 0, s18
	v_rcp_iflag_f32_e32 v4, v4
	v_mul_f32_e32 v4, 0x4f7ffffe, v4
	v_cvt_u32_f32_e32 v4, v4
	v_mul_lo_u32 v7, s1, v4
	v_mul_hi_u32 v7, v4, v7
	v_add_nc_u32_e32 v4, v4, v7
	v_mul_hi_u32 v4, v5, v4
	v_mul_lo_u32 v7, v4, s18
	v_add_nc_u32_e32 v8, 1, v4
	v_sub_nc_u32_e32 v7, v5, v7
	v_subrev_nc_u32_e32 v9, s18, v7
	v_cmp_le_u32_e32 vcc_lo, s18, v7
	v_cndmask_b32_e32 v7, v7, v9, vcc_lo
	v_cndmask_b32_e32 v4, v4, v8, vcc_lo
	v_cmp_le_u32_e32 vcc_lo, s18, v7
	v_add_nc_u32_e32 v8, 1, v4
	v_cndmask_b32_e32 v7, v4, v8, vcc_lo
	v_mov_b32_e32 v8, v3
.LBB0_6:                                ;   in Loop: Header=BB0_2 Depth=1
	s_or_b32 exec_lo, exec_lo, s0
	s_load_dwordx2 s[0:1], s[6:7], 0x0
	v_mul_lo_u32 v4, v8, s18
	v_mul_lo_u32 v11, v7, s19
	v_mad_u64_u32 v[9:10], null, v7, s18, 0
	s_add_u32 s16, s16, 1
	s_addc_u32 s17, s17, 0
	s_add_u32 s6, s6, 8
	s_addc_u32 s7, s7, 0
	;; [unrolled: 2-line block ×3, first 2 shown]
	v_add3_u32 v4, v10, v11, v4
	v_sub_co_u32 v5, vcc_lo, v5, v9
	v_sub_co_ci_u32_e32 v4, vcc_lo, v6, v4, vcc_lo
	s_waitcnt lgkmcnt(0)
	v_mul_lo_u32 v6, s1, v5
	v_mul_lo_u32 v4, s0, v4
	v_mad_u64_u32 v[1:2], null, s0, v5, v[1:2]
	v_cmp_ge_u64_e64 s0, s[16:17], s[10:11]
	s_and_b32 vcc_lo, exec_lo, s0
	v_add3_u32 v2, v6, v2, v4
	s_cbranch_vccnz .LBB0_9
; %bb.7:                                ;   in Loop: Header=BB0_2 Depth=1
	v_mov_b32_e32 v5, v7
	v_mov_b32_e32 v6, v8
	s_branch .LBB0_2
.LBB0_8:
	v_mov_b32_e32 v8, v6
	v_mov_b32_e32 v7, v5
.LBB0_9:
	s_lshl_b64 s[0:1], s[10:11], 3
	v_mul_hi_u32 v5, 0x16c16c2, v0
	s_add_u32 s0, s12, s0
	s_addc_u32 s1, s13, s1
                                        ; implicit-def: $vgpr13
                                        ; implicit-def: $vgpr23
                                        ; implicit-def: $vgpr19
                                        ; implicit-def: $vgpr25
                                        ; implicit-def: $vgpr21
                                        ; implicit-def: $vgpr27
                                        ; implicit-def: $vgpr11
                                        ; implicit-def: $vgpr17
                                        ; implicit-def: $vgpr9
	s_load_dwordx2 s[0:1], s[0:1], 0x0
	s_load_dwordx2 s[4:5], s[4:5], 0x20
	s_waitcnt lgkmcnt(0)
	v_mul_lo_u32 v3, s0, v8
	v_mul_lo_u32 v4, s1, v7
	v_mad_u64_u32 v[1:2], null, s0, v7, v[1:2]
	v_cmp_gt_u64_e32 vcc_lo, s[4:5], v[7:8]
                                        ; implicit-def: $vgpr7
	v_add3_u32 v2, v4, v2, v3
	v_mul_u32_u24_e32 v4, 0xb4, v5
	v_lshlrev_b64 v[2:3], 3, v[1:2]
	v_sub_nc_u32_e32 v0, v0, v4
	s_and_saveexec_b32 s1, vcc_lo
	s_cbranch_execz .LBB0_11
; %bb.10:
	v_mov_b32_e32 v1, 0
	v_lshlrev_b64 v[4:5], 3, v[0:1]
	v_add_co_u32 v1, s0, s2, v2
	v_add_co_ci_u32_e64 v6, s0, s3, v3, s0
	v_add_co_u32 v4, s0, v1, v4
	v_add_co_ci_u32_e64 v5, s0, v6, v5, s0
	v_add_co_u32 v10, s0, 0x800, v4
	v_add_co_ci_u32_e64 v11, s0, 0, v5, s0
	v_add_co_u32 v12, s0, 0x1000, v4
	v_add_co_ci_u32_e64 v13, s0, 0, v5, s0
	v_add_co_u32 v14, s0, 0x1800, v4
	v_add_co_ci_u32_e64 v15, s0, 0, v5, s0
	v_add_co_u32 v18, s0, 0x2000, v4
	v_add_co_ci_u32_e64 v19, s0, 0, v5, s0
	v_add_co_u32 v22, s0, 0x2800, v4
	v_add_co_ci_u32_e64 v23, s0, 0, v5, s0
	s_clause 0x3
	global_load_dwordx2 v[6:7], v[4:5], off
	global_load_dwordx2 v[8:9], v[4:5], off offset:1440
	global_load_dwordx2 v[16:17], v[10:11], off offset:832
	global_load_dwordx2 v[10:11], v[12:13], off offset:224
	v_add_co_u32 v4, s0, 0x3000, v4
	v_add_co_ci_u32_e64 v5, s0, 0, v5, s0
	s_clause 0x5
	global_load_dwordx2 v[26:27], v[12:13], off offset:1664
	global_load_dwordx2 v[20:21], v[14:15], off offset:1056
	;; [unrolled: 1-line block ×6, first 2 shown]
.LBB0_11:
	s_or_b32 exec_lo, exec_lo, s1
	s_waitcnt vmcnt(3)
	v_add_f32_e32 v1, v24, v26
	s_waitcnt vmcnt(1)
	v_sub_f32_e32 v5, v17, v23
	v_add_f32_e32 v29, v22, v16
	v_add_f32_e32 v4, v16, v6
	v_sub_f32_e32 v14, v27, v25
	v_fma_f32 v1, -0.5, v1, v6
	v_sub_f32_e32 v15, v16, v26
	v_sub_f32_e32 v28, v22, v24
	v_fmac_f32_e32 v6, -0.5, v29
	v_add_f32_e32 v30, v10, v8
	v_fmamk_f32 v39, v5, 0x3f737871, v1
	v_fmac_f32_e32 v1, 0xbf737871, v5
	v_add_f32_e32 v15, v28, v15
	v_fmamk_f32 v42, v14, 0xbf737871, v6
	v_fmac_f32_e32 v6, 0x3f737871, v14
	v_fmac_f32_e32 v39, 0x3f167918, v14
	;; [unrolled: 1-line block ×3, first 2 shown]
	v_add_f32_e32 v14, v20, v30
	v_add_f32_e32 v28, v18, v20
	v_sub_f32_e32 v29, v24, v22
	v_fmac_f32_e32 v39, 0x3e9e377a, v15
	v_fmac_f32_e32 v1, 0x3e9e377a, v15
	v_sub_f32_e32 v15, v26, v16
	v_fmac_f32_e32 v42, 0x3f167918, v5
	v_fmac_f32_e32 v6, 0xbf167918, v5
	v_add_f32_e32 v5, v18, v14
	s_waitcnt vmcnt(0)
	v_add_f32_e32 v14, v12, v10
	v_fma_f32 v32, -0.5, v28, v8
	v_sub_f32_e32 v28, v11, v13
	v_add_f32_e32 v15, v29, v15
	v_sub_f32_e32 v30, v10, v20
	v_sub_f32_e32 v31, v12, v18
	v_fmac_f32_e32 v8, -0.5, v14
	v_add_f32_e32 v14, v19, v21
	v_fmamk_f32 v33, v28, 0x3f737871, v32
	v_sub_f32_e32 v29, v21, v19
	v_add_f32_e32 v30, v31, v30
	v_fmac_f32_e32 v42, 0x3e9e377a, v15
	v_fmac_f32_e32 v6, 0x3e9e377a, v15
	v_sub_f32_e32 v15, v20, v10
	v_sub_f32_e32 v31, v18, v12
	v_fma_f32 v34, -0.5, v14, v9
	v_sub_f32_e32 v10, v10, v12
	v_add_f32_e32 v14, v13, v11
	v_fmac_f32_e32 v33, 0x3f167918, v29
	v_add_f32_e32 v5, v12, v5
	v_fmac_f32_e32 v32, 0xbf737871, v28
	v_fmamk_f32 v35, v29, 0xbf737871, v8
	v_add_f32_e32 v12, v31, v15
	v_fmac_f32_e32 v8, 0x3f737871, v29
	v_fmamk_f32 v36, v10, 0xbf737871, v34
	v_sub_f32_e32 v15, v20, v18
	v_fma_f32 v38, -0.5, v14, v9
	v_sub_f32_e32 v14, v11, v21
	v_sub_f32_e32 v18, v13, v19
	v_add_f32_e32 v4, v26, v4
	v_fmac_f32_e32 v33, 0x3e9e377a, v30
	v_fmac_f32_e32 v32, 0xbf167918, v29
	;; [unrolled: 1-line block ×6, first 2 shown]
	v_fmamk_f32 v37, v15, 0x3f737871, v38
	v_sub_f32_e32 v20, v21, v11
	v_sub_f32_e32 v28, v19, v13
	v_add_f32_e32 v14, v18, v14
	v_fmac_f32_e32 v38, 0xbf737871, v15
	v_add_f32_e32 v4, v24, v4
	v_fmac_f32_e32 v32, 0x3e9e377a, v30
	v_fmac_f32_e32 v35, 0x3e9e377a, v12
	;; [unrolled: 1-line block ×4, first 2 shown]
	v_add_f32_e32 v15, v28, v20
	v_fmac_f32_e32 v8, 0x3e9e377a, v12
	v_fmac_f32_e32 v36, 0x3e9e377a, v14
	;; [unrolled: 1-line block ×3, first 2 shown]
	v_mul_f32_e32 v10, 0x3f4f1bbd, v33
	v_add_f32_e32 v4, v22, v4
	v_fmac_f32_e32 v34, 0x3e9e377a, v14
	v_fmac_f32_e32 v37, 0x3e9e377a, v15
	v_mul_f32_e32 v12, 0x3e9e377a, v35
	v_fmac_f32_e32 v38, 0x3e9e377a, v15
	v_mul_f32_e32 v14, 0x3e9e377a, v8
	v_mul_f32_e32 v15, 0x3f4f1bbd, v32
	v_fmac_f32_e32 v10, 0x3f167918, v36
	v_mul_u32_u24_e32 v18, 10, v0
	v_fmac_f32_e32 v12, 0x3f737871, v37
	v_add_f32_e32 v28, v5, v4
	v_fma_f32 v14, 0x3f737871, v38, -v14
	v_fma_f32 v15, 0x3f167918, v34, -v15
	v_add_f32_e32 v29, v39, v10
	v_sub_f32_e32 v41, v4, v5
	v_sub_f32_e32 v4, v39, v10
	v_lshl_add_u32 v39, v18, 2, 0
	v_add_f32_e32 v30, v42, v12
	v_add_f32_e32 v31, v6, v14
	;; [unrolled: 1-line block ×3, first 2 shown]
	v_sub_f32_e32 v14, v6, v14
	v_sub_f32_e32 v15, v1, v15
	v_mad_i32_i24 v1, 0xffffffdc, v0, v39
	v_sub_f32_e32 v5, v42, v12
	ds_write2_b64 v39, v[28:29], v[30:31] offset1:1
	ds_write2_b64 v39, v[40:41], v[4:5] offset0:2 offset1:3
	ds_write_b64 v39, v[14:15] offset:32
	s_waitcnt lgkmcnt(0)
	s_barrier
	buffer_gl0_inv
	ds_read_b32 v10, v1
	ds_read_b32 v31, v1 offset:1200
	ds_read_b32 v30, v1 offset:2400
	;; [unrolled: 1-line block ×5, first 2 shown]
	v_mul_i32_i24_e32 v1, 0xffffffdc, v0
	v_cmp_gt_u32_e64 s0, 0x78, v0
                                        ; implicit-def: $vgpr18
                                        ; implicit-def: $vgpr28
	v_add_nc_u32_e32 v1, v39, v1
	s_and_saveexec_b32 s1, s0
	s_cbranch_execz .LBB0_13
; %bb.12:
	ds_read_b32 v4, v1 offset:720
	ds_read_b32 v5, v1 offset:1920
	;; [unrolled: 1-line block ×6, first 2 shown]
.LBB0_13:
	s_or_b32 exec_lo, exec_lo, s1
	v_add_f32_e32 v6, v17, v7
	v_add_f32_e32 v40, v25, v27
	;; [unrolled: 1-line block ×3, first 2 shown]
	v_sub_f32_e32 v24, v26, v24
	v_sub_f32_e32 v16, v16, v22
	v_add_f32_e32 v6, v27, v6
	v_fma_f32 v40, -0.5, v40, v7
	v_fmac_f32_e32 v7, -0.5, v41
	v_sub_f32_e32 v22, v17, v27
	v_sub_f32_e32 v42, v23, v25
	v_add_f32_e32 v6, v25, v6
	v_sub_f32_e32 v17, v27, v17
	v_fmamk_f32 v41, v24, 0x3f737871, v7
	v_fmac_f32_e32 v7, 0xbf737871, v24
	v_add_f32_e32 v9, v11, v9
	v_add_f32_e32 v6, v23, v6
	v_sub_f32_e32 v23, v25, v23
	v_fmamk_f32 v26, v16, 0xbf737871, v40
	v_fmac_f32_e32 v41, 0xbf167918, v16
	v_fmac_f32_e32 v7, 0x3f167918, v16
	v_add_f32_e32 v9, v21, v9
	v_add_f32_e32 v11, v23, v17
	v_fmac_f32_e32 v40, 0x3f737871, v16
	v_add_f32_e32 v22, v42, v22
	v_fmac_f32_e32 v26, 0xbf167918, v24
	;; [unrolled: 2-line block ×3, first 2 shown]
	v_fmac_f32_e32 v7, 0x3e9e377a, v11
	v_mul_f32_e32 v11, 0xbf167918, v33
	v_mul_f32_e32 v19, 0xbf737871, v35
	v_mul_f32_e32 v16, 0x3e9e377a, v38
	v_fmac_f32_e32 v40, 0x3f167918, v24
	v_mul_f32_e32 v17, 0x3f4f1bbd, v34
	v_fmac_f32_e32 v26, 0x3e9e377a, v22
	v_add_f32_e32 v9, v13, v9
	v_fmac_f32_e32 v11, 0x3f4f1bbd, v36
	v_fmac_f32_e32 v19, 0x3e9e377a, v37
	v_fma_f32 v13, 0xbf737871, v8, -v16
	v_fmac_f32_e32 v40, 0x3e9e377a, v22
	v_fma_f32 v25, 0xbf167918, v32, -v17
	v_add_f32_e32 v16, v9, v6
	v_add_f32_e32 v17, v26, v11
	;; [unrolled: 1-line block ×5, first 2 shown]
	v_sub_f32_e32 v24, v6, v9
	v_sub_f32_e32 v8, v26, v11
	;; [unrolled: 1-line block ×5, first 2 shown]
	s_waitcnt lgkmcnt(0)
	s_barrier
	buffer_gl0_inv
	ds_write2_b64 v39, v[16:17], v[21:22] offset1:1
	ds_write2_b64 v39, v[23:24], v[8:9] offset0:2 offset1:3
	ds_write_b64 v39, v[6:7] offset:32
	s_waitcnt lgkmcnt(0)
	s_barrier
	buffer_gl0_inv
	ds_read_b32 v17, v1
	ds_read_b32 v32, v1 offset:1200
	ds_read_b32 v26, v1 offset:2400
	ds_read_b32 v25, v1 offset:3600
	ds_read_b32 v22, v1 offset:4800
	ds_read_b32 v21, v1 offset:6000
                                        ; implicit-def: $vgpr11
                                        ; implicit-def: $vgpr13
	s_and_saveexec_b32 s1, s0
	s_cbranch_execz .LBB0_15
; %bb.14:
	ds_read_b32 v8, v1 offset:720
	ds_read_b32 v9, v1 offset:1920
	;; [unrolled: 1-line block ×6, first 2 shown]
.LBB0_15:
	s_or_b32 exec_lo, exec_lo, s1
	v_and_b32_e32 v16, 0xff, v0
	v_add_nc_u32_e32 v24, 0xb4, v0
	v_mov_b32_e32 v33, 5
	v_mov_b32_e32 v43, 2
	v_mul_lo_u16 v19, 0xcd, v16
	v_lshrrev_b16 v23, 11, v19
	v_mov_b32_e32 v19, 0xcccd
	v_mul_lo_u16 v27, v23, 10
	v_mul_u32_u24_sdwa v19, v24, v19 dst_sel:DWORD dst_unused:UNUSED_PAD src0_sel:WORD_0 src1_sel:DWORD
	v_sub_nc_u16 v27, v0, v27
	v_lshrrev_b32_e32 v34, 19, v19
	v_mul_u32_u24_sdwa v19, v27, v33 dst_sel:DWORD dst_unused:UNUSED_PAD src0_sel:BYTE_0 src1_sel:DWORD
	v_mul_lo_u16 v35, v34, 10
	v_lshlrev_b32_sdwa v27, v43, v27 dst_sel:DWORD dst_unused:UNUSED_PAD src0_sel:DWORD src1_sel:BYTE_0
	v_lshlrev_b32_e32 v36, 3, v19
	v_sub_nc_u16 v19, v24, v35
	s_clause 0x1
	global_load_dwordx4 v[44:47], v36, s[8:9]
	global_load_dwordx4 v[48:51], v36, s[8:9] offset:16
	v_mul_u32_u24_sdwa v33, v19, v33 dst_sel:DWORD dst_unused:UNUSED_PAD src0_sel:WORD_0 src1_sel:DWORD
	v_lshlrev_b32_e32 v33, 3, v33
	s_clause 0x3
	global_load_dwordx2 v[60:61], v36, s[8:9] offset:32
	global_load_dwordx4 v[52:55], v33, s[8:9]
	global_load_dwordx4 v[56:59], v33, s[8:9] offset:16
	global_load_dwordx2 v[62:63], v33, s[8:9] offset:32
	v_mov_b32_e32 v33, 0xf0
	s_waitcnt vmcnt(0) lgkmcnt(0)
	s_barrier
	buffer_gl0_inv
	v_mul_u32_u24_sdwa v33, v23, v33 dst_sel:DWORD dst_unused:UNUSED_PAD src0_sel:WORD_0 src1_sel:DWORD
	v_mul_lo_u16 v23, v34, 60
	v_add3_u32 v27, 0, v33, v27
	v_mul_f32_e32 v33, v32, v45
	v_mul_f32_e32 v38, v31, v45
	v_mul_f32_e32 v34, v26, v47
	v_mul_f32_e32 v41, v30, v47
	v_mul_f32_e32 v37, v25, v49
	v_mul_f32_e32 v39, v29, v49
	v_mul_f32_e32 v40, v22, v51
	v_mul_f32_e32 v35, v20, v51
	v_mul_f32_e32 v42, v21, v61
	v_fma_f32 v31, v31, v44, -v33
	v_mul_f32_e32 v36, v12, v61
	v_fmac_f32_e32 v38, v32, v44
	v_mul_f32_e32 v45, v9, v53
	v_fma_f32 v44, v30, v46, -v34
	v_fmac_f32_e32 v41, v26, v46
	v_mul_f32_e32 v30, v6, v55
	v_mul_f32_e32 v33, v14, v55
	;; [unrolled: 1-line block ×5, first 2 shown]
	v_fma_f32 v29, v29, v48, -v37
	v_fmac_f32_e32 v39, v25, v48
	v_mul_f32_e32 v37, v11, v63
	v_mul_f32_e32 v25, v18, v63
	;; [unrolled: 1-line block ×4, first 2 shown]
	v_fma_f32 v20, v20, v50, -v40
	v_fmac_f32_e32 v35, v22, v50
	v_fma_f32 v22, v12, v60, -v42
	v_fmac_f32_e32 v36, v21, v60
	v_fma_f32 v21, v5, v52, -v45
	v_fma_f32 v5, v14, v54, -v30
	v_fmac_f32_e32 v33, v6, v54
	v_fma_f32 v14, v15, v56, -v46
	v_fmac_f32_e32 v34, v7, v56
	v_fma_f32 v6, v28, v58, -v47
	v_fma_f32 v12, v18, v62, -v37
	v_fmac_f32_e32 v25, v11, v62
	v_fmac_f32_e32 v32, v9, v52
	v_fmac_f32_e32 v26, v13, v58
	v_add_f32_e32 v7, v10, v44
	v_add_f32_e32 v9, v44, v20
	;; [unrolled: 1-line block ×8, first 2 shown]
	v_sub_f32_e32 v29, v29, v22
	v_sub_f32_e32 v46, v34, v25
	;; [unrolled: 1-line block ×3, first 2 shown]
	v_add_f32_e32 v42, v7, v20
	v_fmac_f32_e32 v10, -0.5, v9
	v_add_f32_e32 v22, v13, v22
	v_fma_f32 v9, -0.5, v28, v38
	v_fma_f32 v13, -0.5, v30, v4
	;; [unrolled: 1-line block ×4, first 2 shown]
	v_sub_f32_e32 v11, v41, v35
	v_sub_f32_e32 v18, v39, v36
	v_fmac_f32_e32 v31, -0.5, v15
	v_fmamk_f32 v7, v29, 0xbf5db3d7, v9
	v_add_f32_e32 v48, v42, v22
	v_sub_f32_e32 v49, v42, v22
	v_fmamk_f32 v42, v46, 0x3f5db3d7, v30
	v_fmamk_f32 v40, v47, 0xbf5db3d7, v37
	v_fmac_f32_e32 v30, 0xbf5db3d7, v46
	v_fmamk_f32 v28, v11, 0x3f5db3d7, v10
	v_fmac_f32_e32 v10, 0xbf5db3d7, v11
	;; [unrolled: 2-line block ×3, first 2 shown]
	v_sub_f32_e32 v45, v33, v26
	v_fmac_f32_e32 v9, 0x3f5db3d7, v29
	v_mul_f32_e32 v29, 0x3f5db3d7, v7
	v_fmac_f32_e32 v37, 0x3f5db3d7, v47
	v_mul_f32_e32 v18, 0x3f5db3d7, v40
	v_mul_f32_e32 v22, -0.5, v30
	v_mul_f32_e32 v46, -0.5, v31
	v_fmamk_f32 v15, v45, 0x3f5db3d7, v13
	v_fmac_f32_e32 v29, 0.5, v11
	v_fmac_f32_e32 v13, 0xbf5db3d7, v45
	v_fmac_f32_e32 v18, 0.5, v42
	v_fmac_f32_e32 v22, 0x3f5db3d7, v37
	v_fmac_f32_e32 v46, 0x3f5db3d7, v9
	v_add_f32_e32 v45, v28, v29
	v_sub_f32_e32 v50, v28, v29
	v_sub_f32_e32 v29, v15, v18
	;; [unrolled: 1-line block ×3, first 2 shown]
	v_add_f32_e32 v47, v10, v46
	v_sub_f32_e32 v10, v10, v46
	ds_write2_b32 v27, v48, v45 offset1:10
	ds_write2_b32 v27, v47, v49 offset0:20 offset1:30
	ds_write2_b32 v27, v50, v10 offset0:40 offset1:50
	s_and_saveexec_b32 s1, s0
	s_cbranch_execz .LBB0_17
; %bb.16:
	v_add_f32_e32 v4, v4, v5
	v_add_f32_e32 v10, v21, v14
	v_lshlrev_b32_sdwa v14, v43, v19 dst_sel:DWORD dst_unused:UNUSED_PAD src0_sel:DWORD src1_sel:WORD_0
	v_lshlrev_b32_sdwa v21, v43, v23 dst_sel:DWORD dst_unused:UNUSED_PAD src0_sel:DWORD src1_sel:WORD_0
	v_add_f32_e32 v4, v4, v6
	v_add_f32_e32 v10, v10, v12
	;; [unrolled: 1-line block ×4, first 2 shown]
	v_add3_u32 v14, 0, v14, v21
	v_add_f32_e32 v15, v4, v10
	v_sub_f32_e32 v4, v4, v10
	ds_write2_b32 v14, v15, v13 offset1:10
	ds_write2_b32 v14, v12, v4 offset0:20 offset1:30
	ds_write2_b32 v14, v29, v28 offset0:40 offset1:50
.LBB0_17:
	s_or_b32 exec_lo, exec_lo, s1
	v_add_f32_e32 v4, v41, v35
	v_add_f32_e32 v13, v38, v39
	v_lshl_add_u32 v14, v0, 2, 0
	v_add_f32_e32 v10, v17, v41
	v_sub_f32_e32 v12, v44, v20
	v_fmac_f32_e32 v17, -0.5, v4
	v_mul_f32_e32 v39, 0xbf5db3d7, v11
	v_mul_f32_e32 v41, -0.5, v9
	v_add_f32_e32 v44, v13, v36
	v_add_f32_e32 v4, v33, v26
	v_add_nc_u32_e32 v13, 0x200, v14
	v_add_nc_u32_e32 v21, 0xb00, v1
	;; [unrolled: 1-line block ×4, first 2 shown]
	v_add_f32_e32 v43, v10, v35
	v_fmamk_f32 v45, v12, 0xbf5db3d7, v17
	v_fmac_f32_e32 v17, 0x3f5db3d7, v12
	v_fmac_f32_e32 v39, 0.5, v7
	v_fmac_f32_e32 v41, 0xbf5db3d7, v31
	v_fma_f32 v35, -0.5, v4, v8
	v_sub_f32_e32 v31, v5, v6
	s_waitcnt lgkmcnt(0)
	s_barrier
	buffer_gl0_inv
	ds_read2_b32 v[11:12], v13 offset0:52 offset1:232
	ds_read_b32 v15, v1
	ds_read_b32 v18, v14 offset:2160
	ds_read2_b32 v[9:10], v21 offset0:16 offset1:196
	ds_read2_b32 v[6:7], v20 offset0:56 offset1:236
	;; [unrolled: 1-line block ×3, first 2 shown]
	v_mul_f32_e32 v36, 0xbf5db3d7, v42
	v_mul_f32_e32 v37, -0.5, v37
	v_fmamk_f32 v38, v31, 0xbf5db3d7, v35
	v_fmac_f32_e32 v35, 0x3f5db3d7, v31
	v_add_f32_e32 v46, v43, v44
	v_fmac_f32_e32 v36, 0.5, v40
	v_fmac_f32_e32 v37, 0xbf5db3d7, v30
	v_add_f32_e32 v47, v45, v39
	v_add_f32_e32 v42, v17, v41
	v_sub_f32_e32 v40, v43, v44
	v_sub_f32_e32 v31, v38, v36
	;; [unrolled: 1-line block ×5, first 2 shown]
	s_waitcnt lgkmcnt(0)
	s_barrier
	buffer_gl0_inv
	ds_write2_b32 v27, v46, v47 offset1:10
	ds_write2_b32 v27, v42, v40 offset0:20 offset1:30
	ds_write2_b32 v27, v39, v17 offset0:40 offset1:50
	s_and_saveexec_b32 s1, s0
	s_cbranch_execz .LBB0_19
; %bb.18:
	v_add_f32_e32 v8, v8, v33
	v_add_f32_e32 v17, v32, v34
	v_mov_b32_e32 v27, 2
	v_add_f32_e32 v8, v8, v26
	v_add_f32_e32 v17, v17, v25
	v_lshlrev_b32_sdwa v19, v27, v19 dst_sel:DWORD dst_unused:UNUSED_PAD src0_sel:DWORD src1_sel:WORD_0
	v_lshlrev_b32_sdwa v23, v27, v23 dst_sel:DWORD dst_unused:UNUSED_PAD src0_sel:DWORD src1_sel:WORD_0
	v_add_f32_e32 v25, v38, v36
	v_add_f32_e32 v26, v35, v37
	v_add_f32_e32 v27, v8, v17
	v_sub_f32_e32 v8, v8, v17
	v_add3_u32 v19, 0, v19, v23
	ds_write2_b32 v19, v27, v25 offset1:10
	ds_write2_b32 v19, v26, v8 offset0:20 offset1:30
	ds_write2_b32 v19, v31, v30 offset0:40 offset1:50
.LBB0_19:
	s_or_b32 exec_lo, exec_lo, s1
	v_mul_lo_u16 v8, 0x89, v16
	v_mov_b32_e32 v17, 9
	s_waitcnt lgkmcnt(0)
	s_barrier
	buffer_gl0_inv
	v_lshrrev_b16 v8, 13, v8
	v_mov_b32_e32 v23, 2
	v_cmp_gt_u32_e64 s0, 60, v0
	v_mul_lo_u16 v16, v8, 60
	v_sub_nc_u16 v16, v0, v16
	v_mul_u32_u24_sdwa v17, v16, v17 dst_sel:DWORD dst_unused:UNUSED_PAD src0_sel:BYTE_0 src1_sel:DWORD
	v_lshlrev_b32_e32 v17, 3, v17
	s_clause 0x4
	global_load_dwordx4 v[39:42], v17, s[8:9] offset:400
	global_load_dwordx4 v[44:47], v17, s[8:9] offset:416
	;; [unrolled: 1-line block ×4, first 2 shown]
	global_load_dwordx2 v[56:57], v17, s[8:9] offset:464
	ds_read2_b32 v[58:59], v13 offset0:52 offset1:232
	ds_read_b32 v19, v1
	ds_read_b32 v32, v14 offset:2160
	ds_read2_b32 v[60:61], v21 offset0:16 offset1:196
	ds_read2_b32 v[62:63], v20 offset0:56 offset1:236
	;; [unrolled: 1-line block ×3, first 2 shown]
	v_mov_b32_e32 v17, 0x960
	v_lshlrev_b32_sdwa v21, v23, v16 dst_sel:DWORD dst_unused:UNUSED_PAD src0_sel:DWORD src1_sel:BYTE_0
	v_add_nc_u32_e32 v16, 0x900, v1
	v_add_nc_u32_e32 v22, 0x1500, v1
	s_waitcnt vmcnt(0) lgkmcnt(0)
	v_mul_u32_u24_sdwa v8, v8, v17 dst_sel:DWORD dst_unused:UNUSED_PAD src0_sel:WORD_0 src1_sel:DWORD
	v_add_nc_u32_e32 v17, 0xf00, v1
	s_barrier
	buffer_gl0_inv
	v_add3_u32 v20, 0, v8, v21
	v_add_nc_u32_e32 v8, 0x200, v20
	v_add_nc_u32_e32 v21, 0x400, v20
	;; [unrolled: 1-line block ×3, first 2 shown]
	v_mul_f32_e32 v25, v58, v40
	v_mul_f32_e32 v26, v59, v42
	;; [unrolled: 1-line block ×11, first 2 shown]
	v_fma_f32 v25, v11, v39, -v25
	v_fma_f32 v43, v12, v41, -v26
	v_mul_f32_e32 v11, v62, v51
	v_mul_f32_e32 v12, v63, v53
	;; [unrolled: 1-line block ×5, first 2 shown]
	v_fmac_f32_e32 v33, v61, v48
	v_fmac_f32_e32 v35, v63, v52
	v_mul_f32_e32 v38, v6, v51
	v_fmac_f32_e32 v27, v58, v39
	v_fmac_f32_e32 v36, v59, v41
	v_mul_f32_e32 v39, v4, v55
	v_fma_f32 v40, v18, v44, -v40
	v_fmac_f32_e32 v34, v32, v44
	v_fma_f32 v18, v9, v46, -v42
	v_fma_f32 v9, v10, v48, -v45
	;; [unrolled: 1-line block ×6, first 2 shown]
	v_fmac_f32_e32 v26, v65, v56
	v_add_f32_e32 v56, v33, v35
	v_add_f32_e32 v5, v15, v43
	;; [unrolled: 1-line block ×7, first 2 shown]
	v_fmac_f32_e32 v37, v60, v46
	v_fmac_f32_e32 v39, v64, v54
	v_sub_f32_e32 v12, v43, v18
	v_sub_f32_e32 v32, v48, v41
	;; [unrolled: 1-line block ×4, first 2 shown]
	v_add_f32_e32 v46, v25, v40
	v_sub_f32_e32 v51, v40, v9
	v_sub_f32_e32 v54, v9, v40
	;; [unrolled: 1-line block ×3, first 2 shown]
	v_fma_f32 v40, -0.5, v56, v27
	v_fmac_f32_e32 v38, v62, v50
	v_sub_f32_e32 v50, v33, v35
	v_sub_f32_e32 v58, v9, v6
	v_add_f32_e32 v64, v5, v18
	v_fma_f32 v7, -0.5, v7, v15
	v_fmac_f32_e32 v15, -0.5, v42
	v_fma_f32 v5, -0.5, v47, v25
	v_fmac_f32_e32 v25, -0.5, v53
	v_fma_f32 v42, -0.5, v61, v27
	v_sub_f32_e32 v49, v34, v26
	v_sub_f32_e32 v59, v34, v33
	;; [unrolled: 1-line block ×3, first 2 shown]
	v_add_f32_e32 v12, v12, v32
	v_add_f32_e32 v32, v44, v45
	v_fmamk_f32 v44, v57, 0xbf737871, v40
	v_sub_f32_e32 v52, v4, v6
	v_sub_f32_e32 v55, v6, v4
	;; [unrolled: 1-line block ×4, first 2 shown]
	v_add_f32_e32 v9, v46, v9
	v_fmamk_f32 v46, v50, 0xbf737871, v25
	v_fmac_f32_e32 v25, 0x3f737871, v50
	v_fmamk_f32 v45, v58, 0x3f737871, v42
	v_sub_f32_e32 v10, v36, v39
	v_fmamk_f32 v47, v49, 0x3f737871, v5
	v_fmac_f32_e32 v5, 0xbf737871, v49
	v_add_f32_e32 v53, v59, v60
	v_fmac_f32_e32 v44, 0xbf167918, v58
	v_sub_f32_e32 v11, v37, v38
	v_add_f32_e32 v51, v51, v52
	v_add_f32_e32 v52, v54, v55
	;; [unrolled: 1-line block ×3, first 2 shown]
	v_fmac_f32_e32 v42, 0xbf737871, v58
	v_fmac_f32_e32 v25, 0xbf167918, v49
	;; [unrolled: 1-line block ×3, first 2 shown]
	v_fmamk_f32 v56, v10, 0x3f737871, v7
	v_fmac_f32_e32 v7, 0xbf737871, v10
	v_fmac_f32_e32 v40, 0x3f737871, v57
	;; [unrolled: 1-line block ×3, first 2 shown]
	v_add_f32_e32 v6, v9, v6
	v_fmac_f32_e32 v47, 0x3f167918, v50
	v_fmac_f32_e32 v44, 0x3e9e377a, v53
	v_fmamk_f32 v59, v11, 0xbf737871, v15
	v_fmac_f32_e32 v15, 0x3f737871, v11
	v_fmac_f32_e32 v46, 0x3f167918, v49
	;; [unrolled: 1-line block ×9, first 2 shown]
	v_add_f32_e32 v55, v64, v41
	v_add_f32_e32 v4, v6, v4
	v_fmac_f32_e32 v47, 0x3e9e377a, v51
	v_mul_f32_e32 v6, 0x3f167918, v44
	v_fmac_f32_e32 v59, 0x3f167918, v10
	v_fmac_f32_e32 v15, 0xbf167918, v10
	;; [unrolled: 1-line block ×4, first 2 shown]
	v_mul_f32_e32 v10, 0x3f737871, v45
	v_mul_f32_e32 v11, 0x3e9e377a, v25
	v_fmac_f32_e32 v56, 0x3e9e377a, v12
	v_fmac_f32_e32 v7, 0x3e9e377a, v12
	;; [unrolled: 1-line block ×3, first 2 shown]
	v_mul_f32_e32 v12, 0x3f4f1bbd, v5
	v_add_f32_e32 v9, v55, v48
	v_fmac_f32_e32 v6, 0x3f4f1bbd, v47
	v_fmac_f32_e32 v59, 0x3e9e377a, v32
	;; [unrolled: 1-line block ×4, first 2 shown]
	v_fma_f32 v11, 0x3f737871, v42, -v11
	v_fma_f32 v12, 0x3f167918, v40, -v12
	v_add_f32_e32 v32, v9, v4
	v_add_f32_e32 v49, v56, v6
	;; [unrolled: 1-line block ×4, first 2 shown]
	v_sub_f32_e32 v9, v9, v4
	v_add_f32_e32 v52, v7, v12
	v_sub_f32_e32 v6, v56, v6
	v_sub_f32_e32 v10, v59, v10
	;; [unrolled: 1-line block ×4, first 2 shown]
	ds_write2_b32 v20, v32, v49 offset1:60
	ds_write2_b32 v20, v50, v51 offset0:120 offset1:180
	ds_write2_b32 v8, v52, v9 offset0:112 offset1:172
	ds_write2_b32 v21, v6, v10 offset0:104 offset1:164
	ds_write2_b32 v23, v11, v4 offset0:96 offset1:156
	s_waitcnt lgkmcnt(0)
	s_barrier
	buffer_gl0_inv
	ds_read_b32 v32, v1
	ds_read2_b32 v[8:9], v16 offset0:24 offset1:204
	ds_read2_b32 v[10:11], v17 offset1:240
	ds_read2_b32 v[6:7], v13 offset0:52 offset1:232
	ds_read2_b32 v[12:13], v22 offset0:36 offset1:216
	s_and_saveexec_b32 s1, s0
	s_cbranch_execz .LBB0_21
; %bb.20:
	ds_read_b32 v4, v14 offset:2160
	ds_read_b32 v29, v1 offset:4560
	;; [unrolled: 1-line block ×3, first 2 shown]
.LBB0_21:
	s_or_b32 exec_lo, exec_lo, s1
	v_add_f32_e32 v49, v37, v38
	v_add_f32_e32 v50, v36, v39
	;; [unrolled: 1-line block ×3, first 2 shown]
	v_sub_f32_e32 v43, v43, v48
	v_sub_f32_e32 v18, v18, v41
	v_fma_f32 v49, -0.5, v49, v19
	v_fmac_f32_e32 v19, -0.5, v50
	v_sub_f32_e32 v48, v36, v37
	v_add_f32_e32 v15, v15, v37
	v_sub_f32_e32 v36, v37, v36
	v_fmamk_f32 v41, v43, 0xbf737871, v49
	v_fmac_f32_e32 v49, 0x3f737871, v43
	v_fmamk_f32 v50, v18, 0x3f737871, v19
	v_sub_f32_e32 v37, v38, v39
	v_fmac_f32_e32 v19, 0xbf737871, v18
	v_add_f32_e32 v27, v27, v34
	v_sub_f32_e32 v51, v39, v38
	v_fmac_f32_e32 v41, 0xbf167918, v18
	v_fmac_f32_e32 v49, 0x3f167918, v18
	;; [unrolled: 1-line block ×3, first 2 shown]
	v_add_f32_e32 v18, v36, v37
	v_fmac_f32_e32 v19, 0x3f167918, v43
	v_add_f32_e32 v27, v27, v33
	v_add_f32_e32 v15, v15, v38
	;; [unrolled: 1-line block ×3, first 2 shown]
	v_fmac_f32_e32 v50, 0x3e9e377a, v18
	v_fmac_f32_e32 v19, 0x3e9e377a, v18
	v_add_f32_e32 v18, v27, v35
	v_mul_f32_e32 v27, 0xbf167918, v47
	v_mul_f32_e32 v33, 0xbf737871, v46
	;; [unrolled: 1-line block ×4, first 2 shown]
	v_add_f32_e32 v15, v15, v39
	v_fmac_f32_e32 v41, 0x3e9e377a, v48
	v_add_f32_e32 v18, v18, v26
	v_fmac_f32_e32 v27, 0x3f4f1bbd, v44
	v_fmac_f32_e32 v33, 0x3e9e377a, v45
	v_fma_f32 v25, 0xbf737871, v25, -v34
	v_fmac_f32_e32 v49, 0x3e9e377a, v48
	v_fma_f32 v5, 0xbf167918, v5, -v35
	v_add_f32_e32 v26, v15, v18
	v_add_f32_e32 v34, v41, v27
	;; [unrolled: 1-line block ×5, first 2 shown]
	v_sub_f32_e32 v15, v15, v18
	v_sub_f32_e32 v19, v19, v25
	v_add_nc_u32_e32 v25, 0x200, v20
	v_sub_f32_e32 v18, v41, v27
	v_sub_f32_e32 v27, v50, v33
	;; [unrolled: 1-line block ×3, first 2 shown]
	s_waitcnt lgkmcnt(0)
	s_barrier
	buffer_gl0_inv
	ds_write2_b32 v20, v26, v34 offset1:60
	ds_write2_b32 v20, v35, v36 offset0:120 offset1:180
	ds_write2_b32 v25, v37, v15 offset0:112 offset1:172
	;; [unrolled: 1-line block ×4, first 2 shown]
	v_add_nc_u32_e32 v15, 0x200, v14
	s_waitcnt lgkmcnt(0)
	s_barrier
	buffer_gl0_inv
	ds_read_b32 v33, v1
	ds_read2_b32 v[18:19], v16 offset0:24 offset1:204
	ds_read2_b32 v[20:21], v17 offset1:240
	ds_read2_b32 v[16:17], v15 offset0:52 offset1:232
	ds_read2_b32 v[22:23], v22 offset0:36 offset1:216
	s_and_saveexec_b32 s1, s0
	s_cbranch_execz .LBB0_23
; %bb.22:
	ds_read_b32 v5, v14 offset:2160
	ds_read_b32 v31, v1 offset:4560
	;; [unrolled: 1-line block ×3, first 2 shown]
.LBB0_23:
	s_or_b32 exec_lo, exec_lo, s1
	s_and_saveexec_b32 s1, vcc_lo
	s_cbranch_execz .LBB0_26
; %bb.24:
	v_add_nc_u32_e32 v46, 0x168, v0
	v_mov_b32_e32 v15, 0
	v_lshlrev_b32_e32 v14, 1, v46
	v_lshlrev_b64 v[25:26], 3, v[14:15]
	v_lshlrev_b32_e32 v14, 1, v24
	v_add_co_u32 v1, vcc_lo, s8, v25
	v_add_co_ci_u32_e32 v25, vcc_lo, s9, v26, vcc_lo
	v_lshlrev_b64 v[26:27], 3, v[14:15]
	v_add_co_u32 v24, vcc_lo, 0x1000, v1
	v_add_co_ci_u32_e32 v25, vcc_lo, 0, v25, vcc_lo
	v_lshlrev_b32_e32 v14, 1, v0
	v_add_co_u32 v1, vcc_lo, s8, v26
	global_load_dwordx4 v[34:37], v[24:25], off offset:624
	v_add_co_ci_u32_e32 v25, vcc_lo, s9, v27, vcc_lo
	v_lshlrev_b64 v[26:27], 3, v[14:15]
	v_add_co_u32 v24, vcc_lo, 0x1000, v1
	v_add_co_ci_u32_e32 v25, vcc_lo, 0, v25, vcc_lo
	v_add_co_u32 v1, vcc_lo, s8, v26
	v_add_co_ci_u32_e32 v14, vcc_lo, s9, v27, vcc_lo
	global_load_dwordx4 v[38:41], v[24:25], off offset:624
	v_add_co_u32 v24, vcc_lo, 0x1000, v1
	v_add_co_ci_u32_e32 v25, vcc_lo, 0, v14, vcc_lo
	v_mov_b32_e32 v1, v15
	v_mul_hi_u32 v14, 0x1b4e81b5, v46
	v_add_co_u32 v50, vcc_lo, s2, v2
	global_load_dwordx4 v[42:45], v[24:25], off offset:624
	v_lshlrev_b64 v[24:25], 3, v[0:1]
	v_add_co_ci_u32_e32 v3, vcc_lo, s3, v3, vcc_lo
	v_lshrrev_b32_e32 v1, 6, v14
	v_add_co_u32 v26, vcc_lo, v50, v24
	v_add_co_ci_u32_e32 v27, vcc_lo, v3, v25, vcc_lo
	v_mad_u32_u24 v14, 0x4b0, v1, v46
	v_add_co_u32 v1, vcc_lo, 0x1000, v26
	v_add_co_ci_u32_e32 v2, vcc_lo, 0, v27, vcc_lo
	v_add_co_u32 v24, vcc_lo, 0x2000, v26
	v_lshlrev_b64 v[46:47], 3, v[14:15]
	v_add_co_ci_u32_e32 v25, vcc_lo, 0, v27, vcc_lo
	v_add_co_u32 v48, vcc_lo, 0x1800, v26
	v_add_co_ci_u32_e32 v49, vcc_lo, 0, v27, vcc_lo
	v_add_co_u32 v46, vcc_lo, v50, v46
	;; [unrolled: 2-line block ×5, first 2 shown]
	v_add_co_ci_u32_e32 v55, vcc_lo, 0, v47, vcc_lo
	s_waitcnt vmcnt(2) lgkmcnt(2)
	v_mul_f32_e32 v3, v20, v35
	s_waitcnt lgkmcnt(0)
	v_mul_f32_e32 v14, v23, v37
	v_mul_f32_e32 v35, v10, v35
	;; [unrolled: 1-line block ×3, first 2 shown]
	v_fma_f32 v3, v10, v34, -v3
	v_fma_f32 v14, v13, v36, -v14
	v_fmac_f32_e32 v35, v20, v34
	v_fmac_f32_e32 v37, v23, v36
	v_sub_f32_e32 v34, v3, v14
	s_waitcnt vmcnt(1)
	v_mul_f32_e32 v10, v19, v39
	v_mul_f32_e32 v13, v22, v41
	v_mul_f32_e32 v20, v9, v39
	v_mul_f32_e32 v23, v12, v41
	v_add_f32_e32 v41, v3, v14
	v_add_f32_e32 v3, v7, v3
	v_fma_f32 v56, v9, v38, -v10
	v_fma_f32 v57, v12, v40, -v13
	v_fmac_f32_e32 v20, v19, v38
	v_fmac_f32_e32 v23, v22, v40
	s_waitcnt vmcnt(0)
	v_mul_f32_e32 v19, v18, v43
	v_mul_f32_e32 v22, v21, v45
	;; [unrolled: 1-line block ×4, first 2 shown]
	v_add_f32_e32 v36, v35, v37
	v_add_f32_e32 v39, v17, v35
	v_fma_f32 v9, -0.5, v41, v7
	v_add_f32_e32 v12, v3, v14
	v_add_f32_e32 v14, v20, v23
	v_fma_f32 v41, v8, v42, -v19
	v_fma_f32 v11, v11, v44, -v22
	v_fmac_f32_e32 v38, v18, v42
	v_fmac_f32_e32 v40, v21, v44
	v_sub_f32_e32 v35, v35, v37
	v_fma_f32 v10, -0.5, v36, v17
	v_add_f32_e32 v13, v39, v37
	v_add_f32_e32 v37, v56, v57
	;; [unrolled: 1-line block ×3, first 2 shown]
	v_fma_f32 v17, -0.5, v14, v16
	v_add_f32_e32 v14, v38, v40
	v_add_f32_e32 v22, v41, v11
	v_sub_f32_e32 v39, v20, v23
	v_add_f32_e32 v20, v6, v56
	v_fmamk_f32 v8, v34, 0x3f5db3d7, v10
	v_fmac_f32_e32 v10, 0xbf5db3d7, v34
	v_fmamk_f32 v7, v35, 0xbf5db3d7, v9
	v_fmac_f32_e32 v9, 0x3f5db3d7, v35
	v_add_f32_e32 v34, v33, v38
	v_add_f32_e32 v35, v32, v41
	v_sub_f32_e32 v3, v56, v57
	v_fma_f32 v16, -0.5, v37, v6
	v_add_f32_e32 v19, v36, v23
	v_sub_f32_e32 v6, v41, v11
	v_sub_f32_e32 v36, v38, v40
	v_fma_f32 v23, -0.5, v14, v33
	v_fma_f32 v22, -0.5, v22, v32
	v_add_f32_e32 v18, v20, v57
	v_add_f32_e32 v33, v34, v40
	;; [unrolled: 1-line block ×3, first 2 shown]
	v_fmamk_f32 v21, v3, 0x3f5db3d7, v17
	v_fmac_f32_e32 v17, 0xbf5db3d7, v3
	v_fmamk_f32 v20, v39, 0xbf5db3d7, v16
	v_fmac_f32_e32 v16, 0x3f5db3d7, v39
	;; [unrolled: 2-line block ×4, first 2 shown]
	global_store_dwordx2 v[26:27], v[18:19], off offset:1440
	global_store_dwordx2 v[26:27], v[32:33], off
	global_store_dwordx2 v[48:49], v[16:17], off offset:96
	global_store_dwordx2 v[50:51], v[20:21], off offset:800
	;; [unrolled: 1-line block ×4, first 2 shown]
	global_store_dwordx2 v[46:47], v[12:13], off
	global_store_dwordx2 v[52:53], v[9:10], off offset:704
	global_store_dwordx2 v[54:55], v[7:8], off offset:1408
	s_and_b32 exec_lo, exec_lo, s0
	s_cbranch_execz .LBB0_26
; %bb.25:
	v_mov_b32_e32 v3, 0x21c
	v_cndmask_b32_e64 v3, 0xffffffc4, v3, s0
	v_add_lshl_u32 v14, v0, v3, 1
	v_lshlrev_b64 v[6:7], 3, v[14:15]
	v_add_co_u32 v0, vcc_lo, s8, v6
	v_add_co_ci_u32_e32 v3, vcc_lo, s9, v7, vcc_lo
	v_add_co_u32 v6, vcc_lo, 0x1000, v0
	v_add_co_ci_u32_e32 v7, vcc_lo, 0, v3, vcc_lo
	global_load_dwordx4 v[6:9], v[6:7], off offset:624
	s_waitcnt vmcnt(0)
	v_mul_f32_e32 v0, v31, v7
	v_mul_f32_e32 v3, v29, v7
	;; [unrolled: 1-line block ×4, first 2 shown]
	v_fma_f32 v0, v29, v6, -v0
	v_fmac_f32_e32 v3, v31, v6
	v_fma_f32 v10, v28, v8, -v7
	v_fmac_f32_e32 v9, v30, v8
	v_add_co_u32 v6, vcc_lo, 0x3000, v26
	v_add_f32_e32 v11, v4, v0
	v_add_f32_e32 v8, v0, v10
	;; [unrolled: 1-line block ×3, first 2 shown]
	v_sub_f32_e32 v13, v3, v9
	v_add_f32_e32 v3, v5, v3
	v_sub_f32_e32 v0, v0, v10
	v_fmac_f32_e32 v4, -0.5, v8
	v_fmac_f32_e32 v5, -0.5, v12
	v_add_f32_e32 v8, v11, v10
	v_add_f32_e32 v9, v3, v9
	v_add_co_ci_u32_e32 v7, vcc_lo, 0, v27, vcc_lo
	v_fmamk_f32 v10, v13, 0x3f5db3d7, v4
	v_fmamk_f32 v11, v0, 0xbf5db3d7, v5
	v_fmac_f32_e32 v4, 0xbf5db3d7, v13
	v_fmac_f32_e32 v5, 0x3f5db3d7, v0
	global_store_dwordx2 v[1:2], v[8:9], off offset:224
	global_store_dwordx2 v[24:25], v[10:11], off offset:928
	;; [unrolled: 1-line block ×3, first 2 shown]
.LBB0_26:
	s_endpgm
	.section	.rodata,"a",@progbits
	.p2align	6, 0x0
	.amdhsa_kernel fft_rtc_fwd_len1800_factors_10_6_10_3_wgs_180_tpt_180_halfLds_sp_ip_CI_unitstride_sbrr_dirReg
		.amdhsa_group_segment_fixed_size 0
		.amdhsa_private_segment_fixed_size 0
		.amdhsa_kernarg_size 88
		.amdhsa_user_sgpr_count 6
		.amdhsa_user_sgpr_private_segment_buffer 1
		.amdhsa_user_sgpr_dispatch_ptr 0
		.amdhsa_user_sgpr_queue_ptr 0
		.amdhsa_user_sgpr_kernarg_segment_ptr 1
		.amdhsa_user_sgpr_dispatch_id 0
		.amdhsa_user_sgpr_flat_scratch_init 0
		.amdhsa_user_sgpr_private_segment_size 0
		.amdhsa_wavefront_size32 1
		.amdhsa_uses_dynamic_stack 0
		.amdhsa_system_sgpr_private_segment_wavefront_offset 0
		.amdhsa_system_sgpr_workgroup_id_x 1
		.amdhsa_system_sgpr_workgroup_id_y 0
		.amdhsa_system_sgpr_workgroup_id_z 0
		.amdhsa_system_sgpr_workgroup_info 0
		.amdhsa_system_vgpr_workitem_id 0
		.amdhsa_next_free_vgpr 66
		.amdhsa_next_free_sgpr 21
		.amdhsa_reserve_vcc 1
		.amdhsa_reserve_flat_scratch 0
		.amdhsa_float_round_mode_32 0
		.amdhsa_float_round_mode_16_64 0
		.amdhsa_float_denorm_mode_32 3
		.amdhsa_float_denorm_mode_16_64 3
		.amdhsa_dx10_clamp 1
		.amdhsa_ieee_mode 1
		.amdhsa_fp16_overflow 0
		.amdhsa_workgroup_processor_mode 1
		.amdhsa_memory_ordered 1
		.amdhsa_forward_progress 0
		.amdhsa_shared_vgpr_count 0
		.amdhsa_exception_fp_ieee_invalid_op 0
		.amdhsa_exception_fp_denorm_src 0
		.amdhsa_exception_fp_ieee_div_zero 0
		.amdhsa_exception_fp_ieee_overflow 0
		.amdhsa_exception_fp_ieee_underflow 0
		.amdhsa_exception_fp_ieee_inexact 0
		.amdhsa_exception_int_div_zero 0
	.end_amdhsa_kernel
	.text
.Lfunc_end0:
	.size	fft_rtc_fwd_len1800_factors_10_6_10_3_wgs_180_tpt_180_halfLds_sp_ip_CI_unitstride_sbrr_dirReg, .Lfunc_end0-fft_rtc_fwd_len1800_factors_10_6_10_3_wgs_180_tpt_180_halfLds_sp_ip_CI_unitstride_sbrr_dirReg
                                        ; -- End function
	.section	.AMDGPU.csdata,"",@progbits
; Kernel info:
; codeLenInByte = 6544
; NumSgprs: 23
; NumVgprs: 66
; ScratchSize: 0
; MemoryBound: 0
; FloatMode: 240
; IeeeMode: 1
; LDSByteSize: 0 bytes/workgroup (compile time only)
; SGPRBlocks: 2
; VGPRBlocks: 8
; NumSGPRsForWavesPerEU: 23
; NumVGPRsForWavesPerEU: 66
; Occupancy: 12
; WaveLimiterHint : 1
; COMPUTE_PGM_RSRC2:SCRATCH_EN: 0
; COMPUTE_PGM_RSRC2:USER_SGPR: 6
; COMPUTE_PGM_RSRC2:TRAP_HANDLER: 0
; COMPUTE_PGM_RSRC2:TGID_X_EN: 1
; COMPUTE_PGM_RSRC2:TGID_Y_EN: 0
; COMPUTE_PGM_RSRC2:TGID_Z_EN: 0
; COMPUTE_PGM_RSRC2:TIDIG_COMP_CNT: 0
	.text
	.p2alignl 6, 3214868480
	.fill 48, 4, 3214868480
	.type	__hip_cuid_c8cf4ad940733799,@object ; @__hip_cuid_c8cf4ad940733799
	.section	.bss,"aw",@nobits
	.globl	__hip_cuid_c8cf4ad940733799
__hip_cuid_c8cf4ad940733799:
	.byte	0                               ; 0x0
	.size	__hip_cuid_c8cf4ad940733799, 1

	.ident	"AMD clang version 19.0.0git (https://github.com/RadeonOpenCompute/llvm-project roc-6.4.0 25133 c7fe45cf4b819c5991fe208aaa96edf142730f1d)"
	.section	".note.GNU-stack","",@progbits
	.addrsig
	.addrsig_sym __hip_cuid_c8cf4ad940733799
	.amdgpu_metadata
---
amdhsa.kernels:
  - .args:
      - .actual_access:  read_only
        .address_space:  global
        .offset:         0
        .size:           8
        .value_kind:     global_buffer
      - .offset:         8
        .size:           8
        .value_kind:     by_value
      - .actual_access:  read_only
        .address_space:  global
        .offset:         16
        .size:           8
        .value_kind:     global_buffer
      - .actual_access:  read_only
        .address_space:  global
        .offset:         24
        .size:           8
        .value_kind:     global_buffer
      - .offset:         32
        .size:           8
        .value_kind:     by_value
      - .actual_access:  read_only
        .address_space:  global
        .offset:         40
        .size:           8
        .value_kind:     global_buffer
      - .actual_access:  read_only
        .address_space:  global
        .offset:         48
        .size:           8
        .value_kind:     global_buffer
      - .offset:         56
        .size:           4
        .value_kind:     by_value
      - .actual_access:  read_only
        .address_space:  global
        .offset:         64
        .size:           8
        .value_kind:     global_buffer
      - .actual_access:  read_only
        .address_space:  global
        .offset:         72
        .size:           8
        .value_kind:     global_buffer
      - .address_space:  global
        .offset:         80
        .size:           8
        .value_kind:     global_buffer
    .group_segment_fixed_size: 0
    .kernarg_segment_align: 8
    .kernarg_segment_size: 88
    .language:       OpenCL C
    .language_version:
      - 2
      - 0
    .max_flat_workgroup_size: 180
    .name:           fft_rtc_fwd_len1800_factors_10_6_10_3_wgs_180_tpt_180_halfLds_sp_ip_CI_unitstride_sbrr_dirReg
    .private_segment_fixed_size: 0
    .sgpr_count:     23
    .sgpr_spill_count: 0
    .symbol:         fft_rtc_fwd_len1800_factors_10_6_10_3_wgs_180_tpt_180_halfLds_sp_ip_CI_unitstride_sbrr_dirReg.kd
    .uniform_work_group_size: 1
    .uses_dynamic_stack: false
    .vgpr_count:     66
    .vgpr_spill_count: 0
    .wavefront_size: 32
    .workgroup_processor_mode: 1
amdhsa.target:   amdgcn-amd-amdhsa--gfx1030
amdhsa.version:
  - 1
  - 2
...

	.end_amdgpu_metadata
